;; amdgpu-corpus repo=ROCm/rocFFT kind=compiled arch=gfx1030 opt=O3
	.text
	.amdgcn_target "amdgcn-amd-amdhsa--gfx1030"
	.amdhsa_code_object_version 6
	.protected	fft_rtc_fwd_len1040_factors_13_16_5_wgs_208_tpt_208_halfLds_dp_op_CI_CI_sbrr_dirReg ; -- Begin function fft_rtc_fwd_len1040_factors_13_16_5_wgs_208_tpt_208_halfLds_dp_op_CI_CI_sbrr_dirReg
	.globl	fft_rtc_fwd_len1040_factors_13_16_5_wgs_208_tpt_208_halfLds_dp_op_CI_CI_sbrr_dirReg
	.p2align	8
	.type	fft_rtc_fwd_len1040_factors_13_16_5_wgs_208_tpt_208_halfLds_dp_op_CI_CI_sbrr_dirReg,@function
fft_rtc_fwd_len1040_factors_13_16_5_wgs_208_tpt_208_halfLds_dp_op_CI_CI_sbrr_dirReg: ; @fft_rtc_fwd_len1040_factors_13_16_5_wgs_208_tpt_208_halfLds_dp_op_CI_CI_sbrr_dirReg
; %bb.0:
	s_clause 0x2
	s_load_dwordx4 s[16:19], s[4:5], 0x18
	s_load_dwordx4 s[12:15], s[4:5], 0x0
	;; [unrolled: 1-line block ×3, first 2 shown]
	v_mul_u32_u24_e32 v2, 0x13c, v0
	v_mov_b32_e32 v1, 0
	v_mov_b32_e32 v36, 0
	;; [unrolled: 1-line block ×3, first 2 shown]
	s_waitcnt lgkmcnt(0)
	s_load_dwordx2 s[20:21], s[16:17], 0x0
	s_load_dwordx2 s[2:3], s[18:19], 0x0
	v_cmp_lt_u64_e64 s0, s[14:15], 2
	v_add_nc_u32_sdwa v3, s6, v2 dst_sel:DWORD dst_unused:UNUSED_PAD src0_sel:DWORD src1_sel:WORD_1
	v_mov_b32_e32 v4, v1
	s_and_b32 vcc_lo, exec_lo, s0
	s_cbranch_vccnz .LBB0_8
; %bb.1:
	s_load_dwordx2 s[0:1], s[4:5], 0x10
	v_mov_b32_e32 v36, 0
	v_mov_b32_e32 v37, 0
	s_add_u32 s6, s18, 8
	s_addc_u32 s7, s19, 0
	s_add_u32 s22, s16, 8
	s_addc_u32 s23, s17, 0
	v_mov_b32_e32 v85, v37
	v_mov_b32_e32 v84, v36
	s_mov_b64 s[26:27], 1
	s_waitcnt lgkmcnt(0)
	s_add_u32 s24, s0, 8
	s_addc_u32 s25, s1, 0
.LBB0_2:                                ; =>This Inner Loop Header: Depth=1
	s_load_dwordx2 s[28:29], s[24:25], 0x0
                                        ; implicit-def: $vgpr86_vgpr87
	s_mov_b32 s0, exec_lo
	s_waitcnt lgkmcnt(0)
	v_or_b32_e32 v2, s29, v4
	v_cmpx_ne_u64_e32 0, v[1:2]
	s_xor_b32 s1, exec_lo, s0
	s_cbranch_execz .LBB0_4
; %bb.3:                                ;   in Loop: Header=BB0_2 Depth=1
	v_cvt_f32_u32_e32 v2, s28
	v_cvt_f32_u32_e32 v5, s29
	s_sub_u32 s0, 0, s28
	s_subb_u32 s30, 0, s29
	v_fmac_f32_e32 v2, 0x4f800000, v5
	v_rcp_f32_e32 v2, v2
	v_mul_f32_e32 v2, 0x5f7ffffc, v2
	v_mul_f32_e32 v5, 0x2f800000, v2
	v_trunc_f32_e32 v5, v5
	v_fmac_f32_e32 v2, 0xcf800000, v5
	v_cvt_u32_f32_e32 v5, v5
	v_cvt_u32_f32_e32 v2, v2
	v_mul_lo_u32 v6, s0, v5
	v_mul_hi_u32 v7, s0, v2
	v_mul_lo_u32 v8, s30, v2
	v_add_nc_u32_e32 v6, v7, v6
	v_mul_lo_u32 v7, s0, v2
	v_add_nc_u32_e32 v6, v6, v8
	v_mul_hi_u32 v8, v2, v7
	v_mul_lo_u32 v9, v2, v6
	v_mul_hi_u32 v10, v2, v6
	v_mul_hi_u32 v11, v5, v7
	v_mul_lo_u32 v7, v5, v7
	v_mul_hi_u32 v12, v5, v6
	v_mul_lo_u32 v6, v5, v6
	v_add_co_u32 v8, vcc_lo, v8, v9
	v_add_co_ci_u32_e32 v9, vcc_lo, 0, v10, vcc_lo
	v_add_co_u32 v7, vcc_lo, v8, v7
	v_add_co_ci_u32_e32 v7, vcc_lo, v9, v11, vcc_lo
	v_add_co_ci_u32_e32 v8, vcc_lo, 0, v12, vcc_lo
	v_add_co_u32 v6, vcc_lo, v7, v6
	v_add_co_ci_u32_e32 v7, vcc_lo, 0, v8, vcc_lo
	v_add_co_u32 v2, vcc_lo, v2, v6
	v_add_co_ci_u32_e32 v5, vcc_lo, v5, v7, vcc_lo
	v_mul_hi_u32 v6, s0, v2
	v_mul_lo_u32 v8, s30, v2
	v_mul_lo_u32 v7, s0, v5
	v_add_nc_u32_e32 v6, v6, v7
	v_mul_lo_u32 v7, s0, v2
	v_add_nc_u32_e32 v6, v6, v8
	v_mul_hi_u32 v8, v2, v7
	v_mul_lo_u32 v9, v2, v6
	v_mul_hi_u32 v10, v2, v6
	v_mul_hi_u32 v11, v5, v7
	v_mul_lo_u32 v7, v5, v7
	v_mul_hi_u32 v12, v5, v6
	v_mul_lo_u32 v6, v5, v6
	v_add_co_u32 v8, vcc_lo, v8, v9
	v_add_co_ci_u32_e32 v9, vcc_lo, 0, v10, vcc_lo
	v_add_co_u32 v7, vcc_lo, v8, v7
	v_add_co_ci_u32_e32 v7, vcc_lo, v9, v11, vcc_lo
	v_add_co_ci_u32_e32 v8, vcc_lo, 0, v12, vcc_lo
	v_add_co_u32 v6, vcc_lo, v7, v6
	v_add_co_ci_u32_e32 v7, vcc_lo, 0, v8, vcc_lo
	v_add_co_u32 v2, vcc_lo, v2, v6
	v_add_co_ci_u32_e32 v9, vcc_lo, v5, v7, vcc_lo
	v_mul_hi_u32 v11, v3, v2
	v_mad_u64_u32 v[7:8], null, v4, v2, 0
	v_mad_u64_u32 v[5:6], null, v3, v9, 0
	v_mad_u64_u32 v[9:10], null, v4, v9, 0
	v_add_co_u32 v2, vcc_lo, v11, v5
	v_add_co_ci_u32_e32 v5, vcc_lo, 0, v6, vcc_lo
	v_add_co_u32 v2, vcc_lo, v2, v7
	v_add_co_ci_u32_e32 v2, vcc_lo, v5, v8, vcc_lo
	v_add_co_ci_u32_e32 v5, vcc_lo, 0, v10, vcc_lo
	v_add_co_u32 v2, vcc_lo, v2, v9
	v_add_co_ci_u32_e32 v7, vcc_lo, 0, v5, vcc_lo
	v_mul_lo_u32 v8, s29, v2
	v_mad_u64_u32 v[5:6], null, s28, v2, 0
	v_mul_lo_u32 v9, s28, v7
	v_sub_co_u32 v5, vcc_lo, v3, v5
	v_add3_u32 v6, v6, v9, v8
	v_sub_nc_u32_e32 v8, v4, v6
	v_subrev_co_ci_u32_e64 v8, s0, s29, v8, vcc_lo
	v_add_co_u32 v9, s0, v2, 2
	v_add_co_ci_u32_e64 v10, s0, 0, v7, s0
	v_sub_co_u32 v11, s0, v5, s28
	v_sub_co_ci_u32_e32 v6, vcc_lo, v4, v6, vcc_lo
	v_subrev_co_ci_u32_e64 v8, s0, 0, v8, s0
	v_cmp_le_u32_e32 vcc_lo, s28, v11
	v_cmp_eq_u32_e64 s0, s29, v6
	v_cndmask_b32_e64 v11, 0, -1, vcc_lo
	v_cmp_le_u32_e32 vcc_lo, s29, v8
	v_cndmask_b32_e64 v12, 0, -1, vcc_lo
	v_cmp_le_u32_e32 vcc_lo, s28, v5
	;; [unrolled: 2-line block ×3, first 2 shown]
	v_cndmask_b32_e64 v13, 0, -1, vcc_lo
	v_cmp_eq_u32_e32 vcc_lo, s29, v8
	v_cndmask_b32_e64 v5, v13, v5, s0
	v_cndmask_b32_e32 v8, v12, v11, vcc_lo
	v_add_co_u32 v11, vcc_lo, v2, 1
	v_add_co_ci_u32_e32 v12, vcc_lo, 0, v7, vcc_lo
	v_cmp_ne_u32_e32 vcc_lo, 0, v8
	v_cndmask_b32_e32 v6, v12, v10, vcc_lo
	v_cndmask_b32_e32 v8, v11, v9, vcc_lo
	v_cmp_ne_u32_e32 vcc_lo, 0, v5
	v_cndmask_b32_e32 v87, v7, v6, vcc_lo
	v_cndmask_b32_e32 v86, v2, v8, vcc_lo
.LBB0_4:                                ;   in Loop: Header=BB0_2 Depth=1
	s_andn2_saveexec_b32 s0, s1
	s_cbranch_execz .LBB0_6
; %bb.5:                                ;   in Loop: Header=BB0_2 Depth=1
	v_cvt_f32_u32_e32 v2, s28
	s_sub_i32 s1, 0, s28
	v_mov_b32_e32 v87, v1
	v_rcp_iflag_f32_e32 v2, v2
	v_mul_f32_e32 v2, 0x4f7ffffe, v2
	v_cvt_u32_f32_e32 v2, v2
	v_mul_lo_u32 v5, s1, v2
	v_mul_hi_u32 v5, v2, v5
	v_add_nc_u32_e32 v2, v2, v5
	v_mul_hi_u32 v2, v3, v2
	v_mul_lo_u32 v5, v2, s28
	v_add_nc_u32_e32 v6, 1, v2
	v_sub_nc_u32_e32 v5, v3, v5
	v_subrev_nc_u32_e32 v7, s28, v5
	v_cmp_le_u32_e32 vcc_lo, s28, v5
	v_cndmask_b32_e32 v5, v5, v7, vcc_lo
	v_cndmask_b32_e32 v2, v2, v6, vcc_lo
	v_cmp_le_u32_e32 vcc_lo, s28, v5
	v_add_nc_u32_e32 v6, 1, v2
	v_cndmask_b32_e32 v86, v2, v6, vcc_lo
.LBB0_6:                                ;   in Loop: Header=BB0_2 Depth=1
	s_or_b32 exec_lo, exec_lo, s0
	v_mul_lo_u32 v2, v87, s28
	v_mul_lo_u32 v7, v86, s29
	s_load_dwordx2 s[0:1], s[22:23], 0x0
	v_mad_u64_u32 v[5:6], null, v86, s28, 0
	s_load_dwordx2 s[28:29], s[6:7], 0x0
	s_add_u32 s26, s26, 1
	s_addc_u32 s27, s27, 0
	s_add_u32 s6, s6, 8
	s_addc_u32 s7, s7, 0
	s_add_u32 s22, s22, 8
	v_add3_u32 v2, v6, v7, v2
	v_sub_co_u32 v3, vcc_lo, v3, v5
	s_addc_u32 s23, s23, 0
	s_add_u32 s24, s24, 8
	v_sub_co_ci_u32_e32 v2, vcc_lo, v4, v2, vcc_lo
	s_addc_u32 s25, s25, 0
	s_waitcnt lgkmcnt(0)
	v_mul_lo_u32 v4, s0, v2
	v_mul_lo_u32 v5, s1, v3
	v_mad_u64_u32 v[36:37], null, s0, v3, v[36:37]
	v_mul_lo_u32 v2, s28, v2
	v_mul_lo_u32 v6, s29, v3
	v_mad_u64_u32 v[84:85], null, s28, v3, v[84:85]
	v_cmp_ge_u64_e64 s0, s[26:27], s[14:15]
	v_add3_u32 v37, v5, v37, v4
	v_add3_u32 v85, v6, v85, v2
	s_and_b32 vcc_lo, exec_lo, s0
	s_cbranch_vccnz .LBB0_9
; %bb.7:                                ;   in Loop: Header=BB0_2 Depth=1
	v_mov_b32_e32 v3, v86
	v_mov_b32_e32 v4, v87
	s_branch .LBB0_2
.LBB0_8:
	v_mov_b32_e32 v85, v37
	v_mov_b32_e32 v87, v4
	;; [unrolled: 1-line block ×4, first 2 shown]
.LBB0_9:
	s_load_dwordx2 s[0:1], s[4:5], 0x28
	s_lshl_b64 s[6:7], s[14:15], 3
	v_mul_hi_u32 v1, 0x13b13b2, v0
	s_add_u32 s4, s18, s6
	s_addc_u32 s5, s19, s7
	v_mov_b32_e32 v89, 0
	s_load_dwordx2 s[4:5], s[4:5], 0x0
                                        ; implicit-def: $vgpr66_vgpr67
                                        ; implicit-def: $vgpr58_vgpr59
                                        ; implicit-def: $vgpr42_vgpr43
                                        ; implicit-def: $vgpr46_vgpr47
                                        ; implicit-def: $vgpr14_vgpr15
                                        ; implicit-def: $vgpr30_vgpr31
                                        ; implicit-def: $vgpr26_vgpr27
                                        ; implicit-def: $vgpr18_vgpr19
                                        ; implicit-def: $vgpr10_vgpr11
                                        ; implicit-def: $vgpr6_vgpr7
                                        ; implicit-def: $vgpr22_vgpr23
                                        ; implicit-def: $vgpr34_vgpr35
                                        ; implicit-def: $vgpr2_vgpr3
	v_mul_u32_u24_e32 v1, 0xd0, v1
	v_sub_nc_u32_e32 v88, v0, v1
	s_waitcnt lgkmcnt(0)
	v_cmp_gt_u64_e32 vcc_lo, s[0:1], v[86:87]
	s_and_saveexec_b32 s1, vcc_lo
	s_cbranch_execz .LBB0_13
; %bb.10:
	s_mov_b32 s14, exec_lo
                                        ; implicit-def: $vgpr0_vgpr1
                                        ; implicit-def: $vgpr32_vgpr33
                                        ; implicit-def: $vgpr20_vgpr21
                                        ; implicit-def: $vgpr4_vgpr5
                                        ; implicit-def: $vgpr8_vgpr9
                                        ; implicit-def: $vgpr16_vgpr17
                                        ; implicit-def: $vgpr24_vgpr25
                                        ; implicit-def: $vgpr28_vgpr29
                                        ; implicit-def: $vgpr12_vgpr13
                                        ; implicit-def: $vgpr44_vgpr45
                                        ; implicit-def: $vgpr40_vgpr41
                                        ; implicit-def: $vgpr56_vgpr57
                                        ; implicit-def: $vgpr64_vgpr65
	v_cmpx_gt_u32_e32 0x50, v88
	s_cbranch_execz .LBB0_12
; %bb.11:
	s_add_u32 s6, s16, s6
	s_addc_u32 s7, s17, s7
	v_add_nc_u32_e32 v13, 0x50, v88
	s_load_dwordx2 s[6:7], s[6:7], 0x0
	v_add_nc_u32_e32 v15, 0xa0, v88
	v_mad_u64_u32 v[0:1], null, s20, v88, 0
	v_mad_u64_u32 v[2:3], null, s20, v13, 0
	;; [unrolled: 1-line block ×3, first 2 shown]
	v_add_nc_u32_e32 v16, 0xf0, v88
	v_add_nc_u32_e32 v18, 0x140, v88
	;; [unrolled: 1-line block ×4, first 2 shown]
	v_mad_u64_u32 v[10:11], null, s21, v88, v[1:2]
	v_lshlrev_b64 v[11:12], 4, v[36:37]
	v_mad_u64_u32 v[8:9], null, s20, v16, 0
	v_add_nc_u32_e32 v27, 0x370, v88
	v_add_nc_u32_e32 v36, 0x3c0, v88
	v_mov_b32_e32 v1, v10
	s_waitcnt lgkmcnt(0)
	v_mul_lo_u32 v14, s7, v86
	v_mul_lo_u32 v17, s6, v87
	v_mad_u64_u32 v[6:7], null, s6, v86, 0
	v_lshlrev_b64 v[0:1], 4, v[0:1]
	v_mad_u64_u32 v[9:10], null, s21, v16, v[9:10]
	v_mad_u64_u32 v[21:22], null, s20, v27, 0
	v_add3_u32 v7, v7, v17, v14
	v_mad_u64_u32 v[13:14], null, s21, v13, v[3:4]
	v_add_nc_u32_e32 v17, 0x190, v88
	v_lshlrev_b64 v[6:7], 4, v[6:7]
	v_mov_b32_e32 v3, v13
	v_mad_u64_u32 v[14:15], null, s21, v15, v[5:6]
	v_add_co_u32 v5, s0, s8, v6
	v_add_co_ci_u32_e64 v6, s0, s9, v7, s0
	v_lshlrev_b64 v[2:3], 4, v[2:3]
	v_add_co_u32 v25, s0, v5, v11
	v_add_co_ci_u32_e64 v26, s0, v6, v12, s0
	v_mad_u64_u32 v[10:11], null, s20, v18, 0
	v_add_co_u32 v0, s0, v25, v0
	v_add_co_ci_u32_e64 v1, s0, v26, v1, s0
	v_add_co_u32 v6, s0, v25, v2
	v_mov_b32_e32 v5, v14
	v_add_co_ci_u32_e64 v7, s0, v26, v3, s0
	s_clause 0x1
	global_load_dwordx4 v[0:3], v[0:1], off
	global_load_dwordx4 v[64:67], v[6:7], off
	v_lshlrev_b64 v[4:5], 4, v[4:5]
	v_lshlrev_b64 v[7:8], 4, v[8:9]
	v_mov_b32_e32 v6, v11
	v_mad_u64_u32 v[12:13], null, s20, v17, 0
	v_add_nc_u32_e32 v9, 0x1e0, v88
	v_add_co_u32 v4, s0, v25, v4
	v_mad_u64_u32 v[14:15], null, s21, v18, v[6:7]
	v_mad_u64_u32 v[15:16], null, s20, v9, 0
	v_add_co_ci_u32_e64 v5, s0, v26, v5, s0
	v_mov_b32_e32 v6, v13
	v_add_co_u32 v7, s0, v25, v7
	v_mov_b32_e32 v11, v14
	v_add_co_ci_u32_e64 v8, s0, v26, v8, s0
	v_mad_u64_u32 v[13:14], null, s21, v17, v[6:7]
	v_mad_u64_u32 v[17:18], null, s20, v19, 0
	v_mov_b32_e32 v6, v16
	s_clause 0x1
	global_load_dwordx4 v[56:59], v[4:5], off
	global_load_dwordx4 v[40:43], v[7:8], off
	v_lshlrev_b64 v[4:5], 4, v[10:11]
	v_or_b32_e32 v11, 0x280, v88
	v_mad_u64_u32 v[6:7], null, s21, v9, v[6:7]
	v_lshlrev_b64 v[8:9], 4, v[12:13]
	v_mov_b32_e32 v7, v18
	v_add_co_u32 v4, s0, v25, v4
	v_add_co_ci_u32_e64 v5, s0, v26, v5, s0
	v_mov_b32_e32 v16, v6
	v_mad_u64_u32 v[6:7], null, s21, v19, v[7:8]
	v_mad_u64_u32 v[19:20], null, s20, v11, 0
	v_add_co_u32 v7, s0, v25, v8
	v_add_co_ci_u32_e64 v8, s0, v26, v9, s0
	v_mov_b32_e32 v18, v6
	v_lshlrev_b64 v[9:10], 4, v[15:16]
	s_clause 0x1
	global_load_dwordx4 v[44:47], v[4:5], off
	global_load_dwordx4 v[12:15], v[7:8], off
	v_mov_b32_e32 v6, v20
	v_lshlrev_b64 v[7:8], 4, v[17:18]
	v_add_nc_u32_e32 v18, 0x2d0, v88
	v_add_co_u32 v4, s0, v25, v9
	v_add_co_ci_u32_e64 v5, s0, v26, v10, s0
	v_mad_u64_u32 v[9:10], null, s21, v11, v[6:7]
	v_mad_u64_u32 v[10:11], null, s20, v18, 0
	;; [unrolled: 1-line block ×3, first 2 shown]
	v_add_co_u32 v6, s0, v25, v7
	v_add_co_ci_u32_e64 v7, s0, v26, v8, s0
	v_mov_b32_e32 v20, v9
	v_mov_b32_e32 v8, v11
	;; [unrolled: 1-line block ×3, first 2 shown]
	s_clause 0x1
	global_load_dwordx4 v[32:35], v[4:5], off
	global_load_dwordx4 v[28:31], v[6:7], off
	v_mov_b32_e32 v4, v22
	v_lshlrev_b64 v[5:6], 4, v[19:20]
	v_mad_u64_u32 v[17:18], null, s21, v18, v[8:9]
	v_mad_u64_u32 v[8:9], null, s21, v23, v[9:10]
	;; [unrolled: 1-line block ×3, first 2 shown]
	v_mov_b32_e32 v11, v17
	v_mov_b32_e32 v17, v8
	v_mad_u64_u32 v[7:8], null, s21, v27, v[4:5]
	v_mov_b32_e32 v4, v24
	v_add_co_u32 v5, s0, v25, v5
	v_lshlrev_b64 v[8:9], 4, v[10:11]
	v_lshlrev_b64 v[16:17], 4, v[16:17]
	v_add_co_ci_u32_e64 v6, s0, v26, v6, s0
	v_mad_u64_u32 v[10:11], null, s21, v36, v[4:5]
	v_mov_b32_e32 v22, v7
	v_add_co_u32 v7, s0, v25, v8
	v_add_co_ci_u32_e64 v8, s0, v26, v9, s0
	v_lshlrev_b64 v[18:19], 4, v[21:22]
	v_mov_b32_e32 v24, v10
	v_add_co_u32 v9, s0, v25, v16
	v_add_co_ci_u32_e64 v10, s0, v26, v17, s0
	v_lshlrev_b64 v[16:17], 4, v[23:24]
	v_add_co_u32 v36, s0, v25, v18
	v_add_co_ci_u32_e64 v37, s0, v26, v19, s0
	v_add_co_u32 v38, s0, v25, v16
	v_add_co_ci_u32_e64 v39, s0, v26, v17, s0
	s_clause 0x4
	global_load_dwordx4 v[24:27], v[5:6], off
	global_load_dwordx4 v[20:23], v[7:8], off
	global_load_dwordx4 v[16:19], v[9:10], off
	global_load_dwordx4 v[8:11], v[36:37], off
	global_load_dwordx4 v[4:7], v[38:39], off
.LBB0_12:
	s_or_b32 exec_lo, exec_lo, s14
	v_mov_b32_e32 v89, v88
.LBB0_13:
	s_or_b32 exec_lo, exec_lo, s1
	s_waitcnt vmcnt(11)
	v_add_f64 v[48:49], v[64:65], v[0:1]
	s_waitcnt vmcnt(0)
	v_add_f64 v[36:37], v[64:65], v[4:5]
	s_mov_b32 s0, 0x1ea71119
	s_mov_b32 s24, 0xebaa3ed8
	;; [unrolled: 1-line block ×4, first 2 shown]
	v_add_f64 v[38:39], v[66:67], -v[6:7]
	v_add_f64 v[50:51], v[56:57], v[8:9]
	s_mov_b32 s6, 0x42a4c3d2
	s_mov_b32 s34, 0xb2365da1
	;; [unrolled: 1-line block ×8, first 2 shown]
	v_add_f64 v[52:53], v[58:59], -v[10:11]
	v_add_f64 v[62:63], v[40:41], v[16:17]
	s_mov_b32 s16, 0x2ef20147
	s_mov_b32 s14, 0x4bc48dbf
	;; [unrolled: 1-line block ×4, first 2 shown]
	v_add_f64 v[48:49], v[56:57], v[48:49]
	v_mul_f64 v[54:55], v[36:37], s[0:1]
	v_mul_f64 v[60:61], v[36:37], s[24:25]
	s_mov_b32 s17, 0x3fedeba7
	s_mov_b32 s15, 0x3fcea1e5
	;; [unrolled: 1-line block ×4, first 2 shown]
	v_mul_f64 v[76:77], v[50:51], s[34:35]
	v_mul_f64 v[78:79], v[50:51], s[22:23]
	s_mov_b32 s21, 0xbfefc445
	s_mov_b32 s39, 0xbfea55e2
	;; [unrolled: 1-line block ×4, first 2 shown]
	v_add_f64 v[68:69], v[42:43], -v[18:19]
	v_add_f64 v[70:71], v[44:45], v[20:21]
	v_mul_f64 v[116:117], v[36:37], s[34:35]
	v_mul_f64 v[120:121], v[36:37], s[42:43]
	;; [unrolled: 1-line block ×6, first 2 shown]
	s_mov_b32 s30, 0x24c2f84
	v_add_f64 v[48:49], v[40:41], v[48:49]
	v_fma_f64 v[80:81], v[38:39], s[6:7], v[54:55]
	v_fma_f64 v[82:83], v[38:39], s[8:9], v[60:61]
	;; [unrolled: 1-line block ×4, first 2 shown]
	s_mov_b32 s36, 0x4267c47c
	s_mov_b32 s19, 0xbfedeba7
	v_fma_f64 v[108:109], v[52:53], s[16:17], v[76:77]
	v_fma_f64 v[110:111], v[52:53], s[14:15], v[78:79]
	s_mov_b32 s31, 0x3fe5384d
	s_mov_b32 s27, 0xbfe5384d
	s_mov_b32 s37, 0x3fddbe06
	s_mov_b32 s41, 0xbfddbe06
	s_mov_b32 s29, 0xbfcea1e5
	s_mov_b32 s18, s16
	s_mov_b32 s26, s30
	s_mov_b32 s40, s36
	s_mov_b32 s28, s14
	v_add_f64 v[72:73], v[46:47], -v[22:23]
	v_mul_f64 v[100:101], v[70:71], s[42:43]
	v_mul_f64 v[102:103], v[70:71], s[44:45]
	;; [unrolled: 1-line block ×3, first 2 shown]
	v_add_f64 v[48:49], v[44:45], v[48:49]
	v_add_f64 v[80:81], v[80:81], v[0:1]
	;; [unrolled: 1-line block ×3, first 2 shown]
	v_mul_f64 v[122:123], v[50:51], s[24:25]
	v_mul_f64 v[134:135], v[50:51], s[44:45]
	v_fma_f64 v[140:141], v[68:69], s[14:15], v[96:97]
	v_fma_f64 v[142:143], v[68:69], s[18:19], v[98:99]
	v_mul_f64 v[50:51], v[50:51], s[0:1]
	v_fma_f64 v[76:77], v[52:53], s[18:19], v[76:77]
	v_add_f64 v[54:55], v[54:55], v[0:1]
	v_fma_f64 v[78:79], v[52:53], s[28:29], v[78:79]
	v_fma_f64 v[152:153], v[38:39], s[14:15], v[132:133]
	;; [unrolled: 1-line block ×4, first 2 shown]
	v_add_f64 v[60:61], v[60:61], v[0:1]
	v_fma_f64 v[36:37], v[38:39], s[40:41], v[36:37]
	v_mul_f64 v[124:125], v[62:63], s[44:45]
	v_mul_f64 v[126:127], v[62:63], s[0:1]
	;; [unrolled: 1-line block ×4, first 2 shown]
	v_fma_f64 v[144:145], v[72:73], s[26:27], v[100:101]
	v_fma_f64 v[146:147], v[72:73], s[40:41], v[102:103]
	v_add_f64 v[48:49], v[12:13], v[48:49]
	v_add_f64 v[80:81], v[108:109], v[80:81]
	;; [unrolled: 1-line block ×3, first 2 shown]
	v_fma_f64 v[108:109], v[38:39], s[16:17], v[116:117]
	v_fma_f64 v[110:111], v[38:39], s[30:31], v[120:121]
	v_fma_f64 v[116:117], v[38:39], s[18:19], v[116:117]
	v_fma_f64 v[120:121], v[38:39], s[26:27], v[120:121]
	v_fma_f64 v[96:97], v[68:69], s[28:29], v[96:97]
	v_fma_f64 v[98:99], v[68:69], s[16:17], v[98:99]
	v_fma_f64 v[38:39], v[52:53], s[20:21], v[122:123]
	v_add_f64 v[54:55], v[76:77], v[54:55]
	v_fma_f64 v[122:123], v[52:53], s[8:9], v[122:123]
	v_add_f64 v[152:153], v[152:153], v[0:1]
	v_add_f64 v[132:133], v[132:133], v[0:1]
	v_fma_f64 v[156:157], v[52:53], s[6:7], v[50:51]
	v_add_f64 v[154:155], v[154:155], v[0:1]
	v_add_f64 v[60:61], v[78:79], v[60:61]
	v_fma_f64 v[50:51], v[52:53], s[38:39], v[50:51]
	v_add_f64 v[74:75], v[12:13], v[24:25]
	v_mul_f64 v[128:129], v[70:71], s[24:25]
	v_mul_f64 v[130:131], v[70:71], s[22:23]
	;; [unrolled: 1-line block ×3, first 2 shown]
	v_add_f64 v[48:49], v[32:33], v[48:49]
	v_add_f64 v[80:81], v[140:141], v[80:81]
	;; [unrolled: 1-line block ×3, first 2 shown]
	v_fma_f64 v[140:141], v[52:53], s[26:27], v[118:119]
	v_add_f64 v[76:77], v[108:109], v[0:1]
	v_add_f64 v[108:109], v[110:111], v[0:1]
	v_fma_f64 v[118:119], v[52:53], s[30:31], v[118:119]
	v_add_f64 v[116:117], v[116:117], v[0:1]
	v_add_f64 v[120:121], v[120:121], v[0:1]
	v_fma_f64 v[142:143], v[52:53], s[40:41], v[134:135]
	v_fma_f64 v[134:135], v[52:53], s[36:37], v[134:135]
	v_add_f64 v[0:1], v[36:37], v[0:1]
	v_fma_f64 v[100:101], v[72:73], s[30:31], v[100:101]
	v_fma_f64 v[110:111], v[68:69], s[40:41], v[124:125]
	;; [unrolled: 1-line block ×3, first 2 shown]
	v_add_f64 v[52:53], v[96:97], v[54:55]
	v_fma_f64 v[96:97], v[68:69], s[36:37], v[124:125]
	v_add_f64 v[60:61], v[98:99], v[60:61]
	v_mul_f64 v[70:71], v[70:71], s[34:35]
	v_add_f64 v[90:91], v[28:29], v[32:33]
	v_add_f64 v[92:93], v[14:15], -v[26:27]
	v_mul_f64 v[104:105], v[74:75], s[24:25]
	v_add_f64 v[48:49], v[28:29], v[48:49]
	v_add_f64 v[78:79], v[144:145], v[80:81]
	;; [unrolled: 1-line block ×3, first 2 shown]
	v_fma_f64 v[82:83], v[72:73], s[36:37], v[102:103]
	v_add_f64 v[54:55], v[140:141], v[76:77]
	v_add_f64 v[38:39], v[38:39], v[108:109]
	v_fma_f64 v[102:103], v[68:69], s[38:39], v[126:127]
	v_add_f64 v[108:109], v[118:119], v[116:117]
	v_add_f64 v[116:117], v[122:123], v[120:121]
	v_fma_f64 v[118:119], v[68:69], s[30:31], v[136:137]
	v_fma_f64 v[120:121], v[68:69], s[26:27], v[136:137]
	v_add_f64 v[122:123], v[142:143], v[152:153]
	v_add_f64 v[124:125], v[134:135], v[132:133]
	v_fma_f64 v[126:127], v[68:69], s[8:9], v[62:63]
	v_add_f64 v[132:133], v[156:157], v[154:155]
	v_add_f64 v[0:1], v[50:51], v[0:1]
	v_fma_f64 v[50:51], v[68:69], s[20:21], v[62:63]
	v_mul_f64 v[106:107], v[74:75], s[0:1]
	v_add_f64 v[52:53], v[100:101], v[52:53]
	v_fma_f64 v[62:63], v[72:73], s[28:29], v[130:131]
	v_mul_f64 v[68:69], v[74:75], s[22:23]
	v_mul_f64 v[98:99], v[74:75], s[44:45]
	v_add_f64 v[48:49], v[24:25], v[48:49]
	v_add_f64 v[94:95], v[34:35], -v[30:31]
	v_mul_f64 v[112:113], v[90:91], s[44:45]
	v_add_f64 v[60:61], v[82:83], v[60:61]
	v_add_f64 v[54:55], v[110:111], v[54:55]
	;; [unrolled: 1-line block ×3, first 2 shown]
	v_fma_f64 v[38:39], v[72:73], s[8:9], v[128:129]
	v_add_f64 v[96:97], v[96:97], v[108:109]
	v_add_f64 v[100:101], v[102:103], v[116:117]
	v_fma_f64 v[102:103], v[72:73], s[20:21], v[128:129]
	v_fma_f64 v[108:109], v[72:73], s[14:15], v[130:131]
	v_add_f64 v[110:111], v[118:119], v[122:123]
	v_add_f64 v[116:117], v[120:121], v[124:125]
	v_fma_f64 v[118:119], v[72:73], s[38:39], v[138:139]
	v_fma_f64 v[120:121], v[72:73], s[6:7], v[138:139]
	v_mul_f64 v[122:123], v[74:75], s[34:35]
	v_add_f64 v[82:83], v[126:127], v[132:133]
	v_fma_f64 v[124:125], v[72:73], s[16:17], v[70:71]
	v_mul_f64 v[74:75], v[74:75], s[42:43]
	v_add_f64 v[0:1], v[50:51], v[0:1]
	;; [unrolled: 3-line block ×3, first 2 shown]
	v_fma_f64 v[148:149], v[92:93], s[20:21], v[104:105]
	v_fma_f64 v[150:151], v[92:93], s[6:7], v[106:107]
	;; [unrolled: 1-line block ×4, first 2 shown]
	v_add_f64 v[36:37], v[62:63], v[36:37]
	v_add_f64 v[38:39], v[38:39], v[54:55]
	v_fma_f64 v[54:55], v[92:93], s[28:29], v[68:69]
	v_fma_f64 v[62:63], v[92:93], s[40:41], v[98:99]
	v_mul_f64 v[104:105], v[90:91], s[0:1]
	v_mul_f64 v[106:107], v[90:91], s[34:35]
	v_add_f64 v[96:97], v[102:103], v[96:97]
	v_add_f64 v[100:101], v[108:109], v[100:101]
	v_fma_f64 v[68:69], v[92:93], s[14:15], v[68:69]
	v_fma_f64 v[98:99], v[92:93], s[36:37], v[98:99]
	v_add_f64 v[102:103], v[118:119], v[110:111]
	v_add_f64 v[108:109], v[120:121], v[116:117]
	v_fma_f64 v[110:111], v[92:93], s[16:17], v[122:123]
	v_fma_f64 v[116:117], v[92:93], s[18:19], v[122:123]
	v_mul_f64 v[118:119], v[90:91], s[24:25]
	v_add_f64 v[82:83], v[124:125], v[82:83]
	v_fma_f64 v[120:121], v[92:93], s[30:31], v[74:75]
	v_mul_f64 v[90:91], v[90:91], s[22:23]
	v_add_f64 v[0:1], v[50:51], v[0:1]
	v_add_f64 v[48:49], v[16:17], v[48:49]
	v_fma_f64 v[50:51], v[92:93], s[26:27], v[74:75]
	v_fma_f64 v[76:77], v[94:95], s[40:41], v[112:113]
	v_add_f64 v[78:79], v[148:149], v[78:79]
	v_add_f64 v[80:81], v[150:151], v[80:81]
	v_fma_f64 v[74:75], v[94:95], s[30:31], v[114:115]
	v_add_f64 v[52:53], v[70:71], v[52:53]
	v_add_f64 v[60:61], v[72:73], v[60:61]
	v_fma_f64 v[72:73], v[94:95], s[36:37], v[112:113]
	v_fma_f64 v[92:93], v[94:95], s[26:27], v[114:115]
	v_add_f64 v[38:39], v[54:55], v[38:39]
	v_add_f64 v[36:37], v[62:63], v[36:37]
	v_fma_f64 v[54:55], v[94:95], s[38:39], v[104:105]
	;; [unrolled: 4-line block ×4, first 2 shown]
	v_fma_f64 v[110:111], v[94:95], s[8:9], v[118:119]
	v_add_f64 v[82:83], v[120:121], v[82:83]
	v_fma_f64 v[112:113], v[94:95], s[14:15], v[90:91]
	v_fma_f64 v[90:91], v[94:95], s[28:29], v[90:91]
	v_add_f64 v[48:49], v[8:9], v[48:49]
	v_add_f64 v[0:1], v[50:51], v[0:1]
	;; [unrolled: 1-line block ×4, first 2 shown]
	v_cmp_gt_u32_e64 s1, 0x50, v88
	v_add_f64 v[74:75], v[72:73], v[52:53]
	v_add_f64 v[72:73], v[92:93], v[60:61]
	;; [unrolled: 1-line block ×11, first 2 shown]
	v_mad_u32_u24 v91, 0x68, v88, 0
	s_and_saveexec_b32 s0, s1
	s_cbranch_execz .LBB0_15
; %bb.14:
	ds_write2_b64 v91, v[48:49], v[50:51] offset1:1
	ds_write2_b64 v91, v[68:69], v[70:71] offset0:2 offset1:3
	ds_write2_b64 v91, v[52:53], v[54:55] offset0:4 offset1:5
	;; [unrolled: 1-line block ×5, first 2 shown]
	ds_write_b64 v91, v[60:61] offset:96
.LBB0_15:
	s_or_b32 exec_lo, exec_lo, s0
	v_cmp_gt_u32_e64 s0, 0x41, v88
	v_lshl_add_u32 v90, v88, 3, 0
	s_waitcnt lgkmcnt(0)
	s_barrier
	buffer_gl0_inv
                                        ; implicit-def: $vgpr80_vgpr81
	s_and_saveexec_b32 s6, s0
	s_cbranch_execz .LBB0_17
; %bb.16:
	v_add_nc_u32_e32 v0, 0x800, v90
	v_add_nc_u32_e32 v1, 0x1000, v90
	;; [unrolled: 1-line block ×3, first 2 shown]
	ds_read2_b64 v[48:51], v90 offset1:65
	ds_read2_b64 v[68:71], v90 offset0:130 offset1:195
	ds_read2_b64 v[52:55], v0 offset0:4 offset1:69
	;; [unrolled: 1-line block ×7, first 2 shown]
.LBB0_17:
	s_or_b32 exec_lo, exec_lo, s6
	v_add_f64 v[0:1], v[66:67], v[2:3]
	v_add_f64 v[4:5], v[64:65], -v[4:5]
	s_mov_b32 s30, 0x42a4c3d2
	s_mov_b32 s36, 0x66966769
	s_mov_b32 s24, 0x2ef20147
	s_mov_b32 s28, 0x24c2f84
	s_mov_b32 s34, 0x4bc48dbf
	s_mov_b32 s23, 0xbfddbe06
	s_mov_b32 s22, 0x4267c47c
	s_mov_b32 s31, 0xbfea55e2
	s_mov_b32 s37, 0xbfefc445
	s_mov_b32 s25, 0xbfedeba7
	s_mov_b32 s29, 0xbfe5384d
	s_mov_b32 s35, 0xbfcea1e5
	v_add_f64 v[66:67], v[66:67], v[6:7]
	v_add_f64 v[8:9], v[56:57], -v[8:9]
	v_add_f64 v[56:57], v[42:43], v[18:19]
	v_add_f64 v[28:29], v[32:33], -v[28:29]
	s_mov_b32 s6, 0xe00740e9
	s_mov_b32 s14, 0x1ea71119
	s_mov_b32 s8, 0xebaa3ed8
	s_mov_b32 s16, 0xb2365da1
	v_add_f64 v[0:1], v[58:59], v[0:1]
	v_mul_f64 v[32:33], v[4:5], s[22:23]
	v_mul_f64 v[64:65], v[4:5], s[36:37]
	;; [unrolled: 1-line block ×4, first 2 shown]
	s_mov_b32 s18, 0xd0032e0c
	s_mov_b32 s20, 0x93053d00
	;; [unrolled: 1-line block ×13, first 2 shown]
	v_add_f64 v[58:59], v[58:59], v[10:11]
	v_add_f64 v[16:17], v[40:41], -v[16:17]
	v_add_f64 v[20:21], v[44:45], -v[20:21]
	v_add_f64 v[44:45], v[14:15], v[26:27]
	v_add_f64 v[0:1], v[42:43], v[0:1]
	v_mul_f64 v[42:43], v[4:5], s[30:31]
	v_mul_f64 v[4:5], v[4:5], s[34:35]
	;; [unrolled: 1-line block ×8, first 2 shown]
	v_fma_f64 v[144:145], v[66:67], s[6:7], v[32:33]
	v_fma_f64 v[146:147], v[66:67], s[8:9], v[64:65]
	v_fma_f64 v[64:65], v[66:67], s[8:9], -v[64:65]
	v_fma_f64 v[148:149], v[66:67], s[16:17], v[92:93]
	v_fma_f64 v[92:93], v[66:67], s[16:17], -v[92:93]
	;; [unrolled: 2-line block ×3, first 2 shown]
	s_mov_b32 s45, 0x3fedeba7
	s_mov_b32 s44, s24
	v_add_f64 v[12:13], v[12:13], -v[24:25]
	v_mul_f64 v[106:107], v[16:17], s[36:37]
	v_mul_f64 v[108:109], v[16:17], s[34:35]
	;; [unrolled: 1-line block ×3, first 2 shown]
	v_add_f64 v[0:1], v[46:47], v[0:1]
	v_mul_f64 v[112:113], v[16:17], s[30:31]
	v_fma_f64 v[152:153], v[66:67], s[20:21], v[4:5]
	v_fma_f64 v[4:5], v[66:67], s[20:21], -v[4:5]
	v_mul_f64 v[114:115], v[16:17], s[28:29]
	v_mul_f64 v[16:17], v[16:17], s[22:23]
	v_fma_f64 v[154:155], v[58:59], s[16:17], v[98:99]
	v_fma_f64 v[98:99], v[58:59], s[16:17], -v[98:99]
	v_fma_f64 v[156:157], v[58:59], s[20:21], v[100:101]
	v_fma_f64 v[100:101], v[58:59], s[20:21], -v[100:101]
	;; [unrolled: 2-line block ×4, first 2 shown]
	v_fma_f64 v[170:171], v[58:59], s[6:7], v[8:9]
	v_add_f64 v[144:145], v[144:145], v[2:3]
	v_add_f64 v[146:147], v[146:147], v[2:3]
	;; [unrolled: 1-line block ×8, first 2 shown]
	v_fma_f64 v[14:15], v[66:67], s[6:7], -v[32:33]
	v_fma_f64 v[32:33], v[66:67], s[14:15], v[42:43]
	v_fma_f64 v[42:43], v[66:67], s[14:15], -v[42:43]
	v_fma_f64 v[66:67], v[58:59], s[14:15], v[96:97]
	v_fma_f64 v[96:97], v[58:59], s[14:15], -v[96:97]
	v_add_f64 v[152:153], v[152:153], v[2:3]
	v_fma_f64 v[8:9], v[58:59], s[6:7], -v[8:9]
	s_mov_b32 s43, 0x3fcea1e5
	s_mov_b32 s39, 0x3fea55e2
	;; [unrolled: 1-line block ×4, first 2 shown]
	v_add_f64 v[40:41], v[46:47], v[22:23]
	v_add_f64 v[24:25], v[30:31], v[34:35]
	v_mul_f64 v[46:47], v[20:21], s[24:25]
	v_mul_f64 v[116:117], v[20:21], s[40:41]
	;; [unrolled: 1-line block ×7, first 2 shown]
	v_fma_f64 v[162:163], v[56:57], s[20:21], v[108:109]
	v_add_f64 v[0:1], v[34:35], v[0:1]
	v_add_f64 v[14:15], v[14:15], v[2:3]
	;; [unrolled: 1-line block ×5, first 2 shown]
	v_fma_f64 v[34:35], v[56:57], s[8:9], v[106:107]
	v_fma_f64 v[106:107], v[56:57], s[8:9], -v[106:107]
	v_fma_f64 v[108:109], v[56:57], s[20:21], -v[108:109]
	v_fma_f64 v[164:165], v[56:57], s[16:17], v[110:111]
	v_fma_f64 v[110:111], v[56:57], s[16:17], -v[110:111]
	v_fma_f64 v[166:167], v[56:57], s[14:15], v[112:113]
	;; [unrolled: 2-line block ×3, first 2 shown]
	v_fma_f64 v[172:173], v[56:57], s[6:7], v[16:17]
	v_fma_f64 v[16:17], v[56:57], s[6:7], -v[16:17]
	v_add_f64 v[64:65], v[100:101], v[64:65]
	v_add_f64 v[92:93], v[102:103], v[92:93]
	;; [unrolled: 1-line block ×4, first 2 shown]
	v_mul_f64 v[126:127], v[12:13], s[26:27]
	v_mul_f64 v[128:129], v[12:13], s[30:31]
	;; [unrolled: 1-line block ×3, first 2 shown]
	v_add_f64 v[0:1], v[30:31], v[0:1]
	v_fma_f64 v[30:31], v[56:57], s[18:19], -v[114:115]
	v_add_f64 v[56:57], v[66:67], v[144:145]
	v_add_f64 v[14:15], v[96:97], v[14:15]
	;; [unrolled: 1-line block ×8, first 2 shown]
	v_mul_f64 v[132:133], v[12:13], s[24:25]
	v_mul_f64 v[12:13], v[12:13], s[22:23]
	v_fma_f64 v[114:115], v[40:41], s[16:17], v[46:47]
	v_fma_f64 v[46:47], v[40:41], s[16:17], -v[46:47]
	v_fma_f64 v[4:5], v[40:41], s[18:19], v[116:117]
	v_fma_f64 v[58:59], v[40:41], s[18:19], -v[116:117]
	v_fma_f64 v[116:117], v[40:41], s[8:9], v[118:119]
	v_fma_f64 v[102:103], v[40:41], s[20:21], v[120:121]
	v_fma_f64 v[104:105], v[40:41], s[20:21], -v[120:121]
	v_fma_f64 v[8:9], v[40:41], s[14:15], -v[122:123]
	v_fma_f64 v[120:121], v[44:45], s[18:19], v[124:125]
	v_add_f64 v[16:17], v[16:17], v[92:93]
	v_add_f64 v[0:1], v[26:27], v[0:1]
	v_fma_f64 v[26:27], v[40:41], s[8:9], -v[118:119]
	v_fma_f64 v[118:119], v[40:41], s[14:15], v[122:123]
	v_fma_f64 v[122:123], v[44:45], s[18:19], -v[124:125]
	v_fma_f64 v[124:125], v[40:41], s[6:7], v[20:21]
	v_fma_f64 v[20:21], v[40:41], s[6:7], -v[20:21]
	v_add_f64 v[34:35], v[34:35], v[56:57]
	v_add_f64 v[14:15], v[106:107], v[14:15]
	;; [unrolled: 1-line block ×11, first 2 shown]
	v_mul_f64 v[134:135], v[28:29], s[34:35]
	v_mul_f64 v[136:137], v[28:29], s[28:29]
	;; [unrolled: 1-line block ×5, first 2 shown]
	v_add_f64 v[0:1], v[22:23], v[0:1]
	v_mul_f64 v[28:29], v[28:29], s[22:23]
	v_fma_f64 v[22:23], v[44:45], s[8:9], v[126:127]
	v_fma_f64 v[96:97], v[44:45], s[8:9], -v[126:127]
	v_fma_f64 v[98:99], v[44:45], s[14:15], v[128:129]
	v_fma_f64 v[100:101], v[44:45], s[14:15], -v[128:129]
	;; [unrolled: 2-line block ×3, first 2 shown]
	v_fma_f64 v[108:109], v[44:45], s[16:17], v[132:133]
	v_fma_f64 v[110:111], v[44:45], s[6:7], v[12:13]
	v_fma_f64 v[12:13], v[44:45], s[6:7], -v[12:13]
	v_add_f64 v[34:35], v[114:115], v[34:35]
	v_add_f64 v[14:15], v[46:47], v[14:15]
	;; [unrolled: 1-line block ×12, first 2 shown]
	v_fma_f64 v[18:19], v[44:45], s[16:17], -v[132:133]
	v_add_f64 v[2:3], v[8:9], v[2:3]
	v_fma_f64 v[44:45], v[24:25], s[20:21], v[134:135]
	v_fma_f64 v[58:59], v[24:25], s[20:21], -v[134:135]
	v_fma_f64 v[64:65], v[24:25], s[18:19], v[136:137]
	v_fma_f64 v[8:9], v[24:25], s[18:19], -v[136:137]
	;; [unrolled: 2-line block ×4, first 2 shown]
	v_add_f64 v[34:35], v[120:121], v[34:35]
	v_add_f64 v[14:15], v[122:123], v[14:15]
	;; [unrolled: 1-line block ×12, first 2 shown]
	v_fma_f64 v[96:97], v[24:25], s[16:17], v[140:141]
	v_fma_f64 v[98:99], v[24:25], s[16:17], -v[140:141]
	v_fma_f64 v[100:101], v[24:25], s[8:9], v[142:143]
	v_fma_f64 v[102:103], v[24:25], s[8:9], -v[142:143]
	v_add_f64 v[104:105], v[18:19], v[2:3]
	s_waitcnt lgkmcnt(0)
	s_barrier
	buffer_gl0_inv
	v_add_f64 v[2:3], v[44:45], v[34:35]
	v_add_f64 v[4:5], v[58:59], v[14:15]
	;; [unrolled: 1-line block ×13, first 2 shown]
	s_and_saveexec_b32 s6, s1
	s_cbranch_execz .LBB0_19
; %bb.18:
	ds_write2_b64 v91, v[0:1], v[2:3] offset1:1
	ds_write2_b64 v91, v[16:17], v[18:19] offset0:2 offset1:3
	ds_write2_b64 v91, v[12:13], v[14:15] offset0:4 offset1:5
	;; [unrolled: 1-line block ×5, first 2 shown]
	ds_write_b64 v91, v[4:5] offset:96
.LBB0_19:
	s_or_b32 exec_lo, exec_lo, s6
	s_waitcnt lgkmcnt(0)
	s_barrier
	buffer_gl0_inv
                                        ; implicit-def: $vgpr32_vgpr33
	s_and_saveexec_b32 s1, s0
	s_cbranch_execz .LBB0_21
; %bb.20:
	v_add_nc_u32_e32 v4, 0x800, v90
	v_add_nc_u32_e32 v5, 0x1000, v90
	;; [unrolled: 1-line block ×3, first 2 shown]
	ds_read2_b64 v[0:3], v90 offset1:65
	ds_read2_b64 v[16:19], v90 offset0:130 offset1:195
	ds_read2_b64 v[12:15], v4 offset0:4 offset1:69
	ds_read2_b64 v[24:27], v4 offset0:134 offset1:199
	ds_read2_b64 v[8:11], v5 offset0:8 offset1:73
	ds_read2_b64 v[20:23], v5 offset0:138 offset1:203
	ds_read2_b64 v[4:7], v28 offset0:12 offset1:77
	ds_read2_b64 v[32:35], v28 offset0:142 offset1:207
.LBB0_21:
	s_or_b32 exec_lo, exec_lo, s1
	v_and_b32_e32 v28, 0xff, v88
	v_mov_b32_e32 v29, 15
	s_mov_b32 s6, 0x667f3bcd
	s_mov_b32 s7, 0x3fe6a09e
	;; [unrolled: 1-line block ×3, first 2 shown]
	v_mul_lo_u16 v28, 0x4f, v28
	s_mov_b32 s8, s6
	v_lshrrev_b16 v91, 10, v28
	v_mul_lo_u16 v28, v91, 13
	v_sub_nc_u16 v92, v88, v28
	v_mul_u32_u24_sdwa v28, v92, v29 dst_sel:DWORD dst_unused:UNUSED_PAD src0_sel:BYTE_0 src1_sel:DWORD
	v_lshlrev_b32_e32 v28, 4, v28
	s_clause 0xe
	global_load_dwordx4 v[40:43], v28, s[12:13]
	global_load_dwordx4 v[44:47], v28, s[12:13] offset:32
	global_load_dwordx4 v[56:59], v28, s[12:13] offset:64
	;; [unrolled: 1-line block ×14, first 2 shown]
	s_waitcnt vmcnt(0) lgkmcnt(0)
	s_barrier
	buffer_gl0_inv
	v_mul_f64 v[133:134], v[2:3], v[42:43]
	v_mul_f64 v[42:43], v[50:51], v[42:43]
	;; [unrolled: 1-line block ×16, first 2 shown]
	v_fma_f64 v[50:51], v[50:51], v[40:41], -v[133:134]
	v_fma_f64 v[2:3], v[2:3], v[40:41], v[42:43]
	v_fma_f64 v[40:41], v[70:71], v[44:45], -v[135:136]
	v_fma_f64 v[18:19], v[18:19], v[44:45], v[46:47]
	;; [unrolled: 2-line block ×7, first 2 shown]
	v_fma_f64 v[34:35], v[34:35], v[105:106], v[147:148]
	v_fma_f64 v[56:57], v[82:83], v[105:106], -v[107:108]
	v_mul_f64 v[58:59], v[16:17], v[111:112]
	v_mul_f64 v[62:63], v[68:69], v[111:112]
	;; [unrolled: 1-line block ×8, first 2 shown]
	v_add_f64 v[38:39], v[50:51], -v[38:39]
	v_add_f64 v[10:11], v[2:3], -v[10:11]
	;; [unrolled: 1-line block ×8, first 2 shown]
	v_fma_f64 v[58:59], v[68:69], v[109:110], -v[58:59]
	v_fma_f64 v[16:17], v[16:17], v[109:110], v[62:63]
	v_fma_f64 v[62:63], v[76:77], v[113:114], -v[64:65]
	v_fma_f64 v[24:25], v[24:25], v[113:114], v[66:67]
	;; [unrolled: 2-line block ×4, first 2 shown]
	v_fma_f64 v[68:69], v[50:51], 2.0, -v[38:39]
	v_fma_f64 v[70:71], v[2:3], 2.0, -v[10:11]
	;; [unrolled: 1-line block ×6, first 2 shown]
	v_add_f64 v[42:43], v[38:39], -v[6:7]
	v_add_f64 v[44:45], v[10:11], v[44:45]
	v_add_f64 v[72:73], v[46:47], -v[34:35]
	v_add_f64 v[6:7], v[22:23], v[56:57]
	v_fma_f64 v[26:27], v[26:27], 2.0, -v[34:35]
	v_fma_f64 v[34:35], v[54:55], 2.0, -v[56:57]
	v_mul_f64 v[50:51], v[60:61], v[131:132]
	v_add_f64 v[54:55], v[58:59], -v[64:65]
	v_add_f64 v[20:21], v[16:17], -v[20:21]
	;; [unrolled: 1-line block ×6, first 2 shown]
	v_mul_f64 v[2:3], v[12:13], v[127:128]
	v_fma_f64 v[74:75], v[38:39], 2.0, -v[42:43]
	v_fma_f64 v[76:77], v[10:11], 2.0, -v[44:45]
	;; [unrolled: 1-line block ×4, first 2 shown]
	v_add_f64 v[22:23], v[18:19], -v[26:27]
	v_add_f64 v[26:27], v[40:41], -v[34:35]
	v_mul_f64 v[34:35], v[52:53], v[127:128]
	v_mul_f64 v[46:47], v[4:5], v[131:132]
	v_fma_f64 v[82:83], v[72:73], s[6:7], v[42:43]
	v_fma_f64 v[93:94], v[6:7], s[6:7], v[44:45]
	v_add_f64 v[80:81], v[20:21], v[56:57]
	v_add_f64 v[78:79], v[54:55], -v[32:33]
	v_fma_f64 v[56:57], v[62:63], 2.0, -v[56:57]
	v_fma_f64 v[24:25], v[24:25], 2.0, -v[32:33]
	v_fma_f64 v[10:11], v[52:53], v[125:126], -v[2:3]
	v_fma_f64 v[2:3], v[68:69], 2.0, -v[64:65]
	v_fma_f64 v[95:96], v[38:39], s[8:9], v[74:75]
	v_fma_f64 v[97:98], v[14:15], s[8:9], v[76:77]
	v_add_f64 v[99:100], v[64:65], -v[22:23]
	v_add_f64 v[101:102], v[66:67], v[26:27]
	v_fma_f64 v[52:53], v[12:13], v[125:126], v[34:35]
	v_fma_f64 v[12:13], v[60:61], v[129:130], -v[46:47]
	v_fma_f64 v[34:35], v[4:5], v[129:130], v[50:51]
	v_fma_f64 v[4:5], v[58:59], 2.0, -v[54:55]
	v_fma_f64 v[50:51], v[16:17], 2.0, -v[20:21]
	;; [unrolled: 1-line block ×7, first 2 shown]
	v_fma_f64 v[6:7], v[6:7], s[8:9], v[82:83]
	v_fma_f64 v[16:17], v[72:73], s[6:7], v[93:94]
	v_mul_f64 v[58:59], v[78:79], s[6:7]
	v_fma_f64 v[14:15], v[14:15], s[8:9], v[95:96]
	v_fma_f64 v[18:19], v[38:39], s[6:7], v[97:98]
	v_fma_f64 v[72:73], v[64:65], 2.0, -v[99:100]
	v_fma_f64 v[82:83], v[66:67], 2.0, -v[101:102]
	v_mul_f64 v[64:65], v[80:81], s[6:7]
	v_add_f64 v[68:69], v[10:11], -v[12:13]
	v_add_f64 v[70:71], v[52:53], -v[34:35]
	;; [unrolled: 1-line block ×4, first 2 shown]
	v_mul_f64 v[60:61], v[32:33], s[6:7]
	v_mul_f64 v[66:67], v[20:21], s[6:7]
	;; [unrolled: 1-line block ×3, first 2 shown]
	v_add_f64 v[24:25], v[2:3], -v[26:27]
	v_add_f64 v[56:57], v[46:47], -v[22:23]
	v_fma_f64 v[22:23], v[42:43], 2.0, -v[6:7]
	v_fma_f64 v[38:39], v[44:45], 2.0, -v[16:17]
	v_mul_f64 v[44:45], v[101:102], s[6:7]
	v_fma_f64 v[26:27], v[74:75], 2.0, -v[14:15]
	v_fma_f64 v[40:41], v[76:77], 2.0, -v[18:19]
	v_mul_f64 v[34:35], v[72:73], s[6:7]
	v_mul_f64 v[42:43], v[82:83], s[6:7]
	s_and_saveexec_b32 s1, s0
	s_cbranch_execz .LBB0_23
; %bb.22:
	v_mul_f64 v[12:13], v[8:9], v[30:31]
	v_fma_f64 v[10:11], v[10:11], 2.0, -v[68:69]
	v_fma_f64 v[4:5], v[4:5], 2.0, -v[54:55]
	s_mov_b32 s7, 0x3fed906b
	s_mov_b32 s6, 0xcf328d46
	;; [unrolled: 1-line block ×6, first 2 shown]
	v_fma_f64 v[2:3], v[2:3], 2.0, -v[24:25]
	v_mov_b32_e32 v101, 0xd0
	v_mul_u32_u24_sdwa v101, v91, v101 dst_sel:DWORD dst_unused:UNUSED_PAD src0_sel:WORD_0 src1_sel:DWORD
	v_or_b32_sdwa v101, v101, v92 dst_sel:DWORD dst_unused:UNUSED_PAD src0_sel:DWORD src1_sel:BYTE_0
	v_fma_f64 v[12:13], v[36:37], v[28:29], -v[12:13]
	v_lshl_add_u32 v101, v101, 3, 0
	v_add_f64 v[12:13], v[48:49], -v[12:13]
	v_add_f64 v[20:21], v[12:13], -v[70:71]
	v_fma_f64 v[48:49], v[48:49], 2.0, -v[12:13]
	v_fma_f64 v[12:13], v[12:13], 2.0, -v[20:21]
	v_add_f64 v[72:73], v[20:21], v[58:59]
	v_add_f64 v[10:11], v[48:49], -v[10:11]
	v_add_f64 v[74:75], v[12:13], -v[60:61]
	;; [unrolled: 1-line block ×4, first 2 shown]
	v_fma_f64 v[48:49], v[48:49], 2.0, -v[10:11]
	v_add_f64 v[74:75], v[74:75], -v[66:67]
	v_fma_f64 v[20:21], v[20:21], 2.0, -v[72:73]
	v_fma_f64 v[10:11], v[10:11], 2.0, -v[76:77]
	v_add_f64 v[4:5], v[48:49], -v[4:5]
	v_fma_f64 v[78:79], v[6:7], s[6:7], v[72:73]
	v_add_f64 v[80:81], v[76:77], v[32:33]
	s_mov_b32 s7, 0xbfed906b
	v_fma_f64 v[12:13], v[12:13], 2.0, -v[74:75]
	v_fma_f64 v[82:83], v[22:23], s[8:9], v[20:21]
	v_add_f64 v[93:94], v[10:11], -v[34:35]
	v_fma_f64 v[95:96], v[14:15], s[14:15], v[74:75]
	v_fma_f64 v[48:49], v[48:49], 2.0, -v[4:5]
	v_fma_f64 v[78:79], v[16:17], s[8:9], v[78:79]
	v_add_f64 v[80:81], v[80:81], -v[44:45]
	v_add_f64 v[99:100], v[4:5], -v[56:57]
	v_fma_f64 v[97:98], v[26:27], s[6:7], v[12:13]
	v_fma_f64 v[82:83], v[38:39], s[6:7], v[82:83]
	v_add_f64 v[93:94], v[93:94], -v[42:43]
	v_fma_f64 v[95:96], v[18:19], s[6:7], v[95:96]
	v_add_f64 v[2:3], v[48:49], -v[2:3]
	v_fma_f64 v[72:73], v[72:73], 2.0, -v[78:79]
	v_fma_f64 v[76:77], v[76:77], 2.0, -v[80:81]
	v_fma_f64 v[4:5], v[4:5], 2.0, -v[99:100]
	v_fma_f64 v[97:98], v[40:41], s[8:9], v[97:98]
	v_fma_f64 v[20:21], v[20:21], 2.0, -v[82:83]
	v_fma_f64 v[10:11], v[10:11], 2.0, -v[93:94]
	;; [unrolled: 1-line block ×5, first 2 shown]
	ds_write2_b64 v101, v[76:77], v[72:73] offset0:78 offset1:91
	ds_write2_b64 v101, v[93:94], v[82:83] offset0:130 offset1:143
	;; [unrolled: 1-line block ×6, first 2 shown]
	ds_write2_b64 v101, v[48:49], v[12:13] offset1:13
	ds_write2_b64 v101, v[80:81], v[78:79] offset0:182 offset1:195
.LBB0_23:
	s_or_b32 exec_lo, exec_lo, s1
	v_add_nc_u32_e32 v10, 0xc00, v90
	s_waitcnt lgkmcnt(0)
	s_barrier
	buffer_gl0_inv
	ds_read2_b64 v[2:5], v90 offset1:208
	ds_read2_b64 v[10:13], v10 offset0:32 offset1:240
	ds_read_b64 v[20:21], v90 offset:6656
	s_waitcnt lgkmcnt(0)
	s_barrier
	buffer_gl0_inv
	s_and_saveexec_b32 s1, s0
	s_cbranch_execz .LBB0_25
; %bb.24:
	v_mul_f64 v[30:31], v[36:37], v[30:31]
	v_fma_f64 v[50:51], v[50:51], 2.0, -v[62:63]
	s_mov_b32 s8, 0xa6aea964
	s_mov_b32 s9, 0x3fd87de2
	;; [unrolled: 1-line block ×6, first 2 shown]
	v_fma_f64 v[46:47], v[46:47], 2.0, -v[56:57]
	v_fma_f64 v[8:9], v[8:9], v[28:29], v[30:31]
	v_fma_f64 v[30:31], v[52:53], 2.0, -v[70:71]
	v_add_f64 v[8:9], v[0:1], -v[8:9]
	v_add_f64 v[28:29], v[8:9], v[68:69]
	v_fma_f64 v[0:1], v[0:1], 2.0, -v[8:9]
	v_fma_f64 v[8:9], v[8:9], 2.0, -v[28:29]
	v_add_f64 v[30:31], v[0:1], -v[30:31]
	v_add_f64 v[36:37], v[28:29], v[64:65]
	v_add_f64 v[48:49], v[8:9], -v[66:67]
	v_add_f64 v[52:53], v[30:31], v[54:55]
	v_add_f64 v[36:37], v[58:59], v[36:37]
	v_fma_f64 v[0:1], v[0:1], 2.0, -v[30:31]
	v_add_f64 v[48:49], v[60:61], v[48:49]
	v_fma_f64 v[30:31], v[30:31], 2.0, -v[52:53]
	v_fma_f64 v[28:29], v[28:29], 2.0, -v[36:37]
	v_add_f64 v[50:51], v[0:1], -v[50:51]
	v_add_f64 v[44:45], v[52:53], v[44:45]
	v_fma_f64 v[8:9], v[8:9], 2.0, -v[48:49]
	v_add_f64 v[42:43], v[30:31], -v[42:43]
	v_fma_f64 v[38:39], v[38:39], s[14:15], v[28:29]
	v_fma_f64 v[18:19], v[18:19], s[8:9], v[48:49]
	v_fma_f64 v[0:1], v[0:1], 2.0, -v[50:51]
	v_add_f64 v[24:25], v[50:51], v[24:25]
	v_add_f64 v[32:33], v[32:33], v[44:45]
	v_fma_f64 v[40:41], v[40:41], s[6:7], v[8:9]
	s_mov_b32 s7, 0x3fed906b
	v_add_f64 v[34:35], v[34:35], v[42:43]
	v_fma_f64 v[16:17], v[16:17], s[6:7], v[36:37]
	v_fma_f64 v[22:23], v[22:23], s[6:7], v[38:39]
	v_fma_f64 v[14:15], v[14:15], s[6:7], v[18:19]
	v_add_f64 v[44:45], v[0:1], -v[46:47]
	v_fma_f64 v[18:19], v[26:27], s[8:9], v[40:41]
	v_mov_b32_e32 v40, 0xd0
	v_fma_f64 v[30:31], v[30:31], 2.0, -v[34:35]
	v_fma_f64 v[6:7], v[6:7], s[8:9], v[16:17]
	v_fma_f64 v[28:29], v[28:29], 2.0, -v[22:23]
	v_fma_f64 v[16:17], v[50:51], 2.0, -v[24:25]
	;; [unrolled: 1-line block ×5, first 2 shown]
	v_mul_u32_u24_sdwa v40, v91, v40 dst_sel:DWORD dst_unused:UNUSED_PAD src0_sel:WORD_0 src1_sel:DWORD
	v_or_b32_sdwa v40, v40, v92 dst_sel:DWORD dst_unused:UNUSED_PAD src0_sel:DWORD src1_sel:BYTE_0
	v_lshl_add_u32 v40, v40, 3, 0
	v_fma_f64 v[8:9], v[8:9], 2.0, -v[18:19]
	v_fma_f64 v[36:37], v[36:37], 2.0, -v[6:7]
	ds_write2_b64 v40, v[34:35], v[22:23] offset0:130 offset1:143
	ds_write2_b64 v40, v[24:25], v[14:15] offset0:156 offset1:169
	;; [unrolled: 1-line block ×5, first 2 shown]
	ds_write2_b64 v40, v[0:1], v[8:9] offset1:13
	ds_write2_b64 v40, v[26:27], v[36:37] offset0:78 offset1:91
	ds_write2_b64 v40, v[32:33], v[6:7] offset0:182 offset1:195
.LBB0_25:
	s_or_b32 exec_lo, exec_lo, s1
	s_waitcnt lgkmcnt(0)
	s_barrier
	buffer_gl0_inv
	s_and_saveexec_b32 s0, vcc_lo
	s_cbranch_execz .LBB0_27
; %bb.26:
	v_lshlrev_b32_e32 v0, 2, v88
	v_mov_b32_e32 v1, 0
	v_mul_lo_u32 v46, s5, v86
	v_mul_lo_u32 v47, s4, v87
	v_mad_u64_u32 v[44:45], null, s4, v86, 0
	v_lshlrev_b64 v[0:1], 4, v[0:1]
	v_add_nc_u32_e32 v53, 0xd0, v89
	v_add_nc_u32_e32 v55, 0x1a0, v89
	s_mov_b32 s6, 0x134454ff
	s_mov_b32 s7, 0xbfee6f0e
	v_add_nc_u32_e32 v71, 0x270, v89
	v_add_co_u32 v6, vcc_lo, s12, v0
	v_add_co_ci_u32_e32 v7, vcc_lo, s13, v1, vcc_lo
	v_add3_u32 v45, v45, v47, v46
	v_add_co_u32 v0, vcc_lo, 0x800, v6
	v_add_co_ci_u32_e32 v1, vcc_lo, 0, v7, vcc_lo
	v_add_co_u32 v18, vcc_lo, 0xc30, v6
	v_add_co_ci_u32_e32 v19, vcc_lo, 0, v7, vcc_lo
	s_clause 0x3
	global_load_dwordx4 v[6:9], v[0:1], off offset:1072
	global_load_dwordx4 v[14:17], v[18:19], off offset:48
	;; [unrolled: 1-line block ×4, first 2 shown]
	v_add_nc_u32_e32 v18, 0xc00, v90
	ds_read2_b64 v[30:33], v90 offset1:208
	ds_read_b64 v[0:1], v90 offset:6656
	ds_read2_b64 v[34:37], v18 offset0:32 offset1:240
	s_mov_b32 s13, 0x3fee6f0e
	s_mov_b32 s12, s6
	v_add_nc_u32_e32 v73, 0x340, v89
	s_mov_b32 s4, 0x4755a5e
	s_mov_b32 s5, 0x3fe2cf23
	s_mov_b32 s9, 0xbfe2cf23
	s_mov_b32 s8, s4
	s_mov_b32 s0, 0x372fe950
	s_mov_b32 s1, 0x3fd3c6ef
	s_waitcnt vmcnt(3)
	v_mul_f64 v[18:19], v[4:5], v[8:9]
	s_waitcnt vmcnt(2)
	v_mul_f64 v[38:39], v[20:21], v[16:17]
	;; [unrolled: 2-line block ×4, first 2 shown]
	s_waitcnt lgkmcnt(2)
	v_mul_f64 v[8:9], v[32:33], v[8:9]
	s_waitcnt lgkmcnt(1)
	v_mul_f64 v[16:17], v[0:1], v[16:17]
	;; [unrolled: 2-line block ×3, first 2 shown]
	v_mul_f64 v[28:29], v[36:37], v[28:29]
	v_fma_f64 v[18:19], v[32:33], v[6:7], v[18:19]
	v_fma_f64 v[0:1], v[0:1], v[14:15], v[38:39]
	;; [unrolled: 1-line block ×4, first 2 shown]
	v_fma_f64 v[4:5], v[4:5], v[6:7], -v[8:9]
	v_fma_f64 v[6:7], v[20:21], v[14:15], -v[16:17]
	;; [unrolled: 1-line block ×4, first 2 shown]
	v_mad_u64_u32 v[12:13], null, s2, v89, 0
	v_lshlrev_b64 v[14:15], 4, v[84:85]
	v_mad_u64_u32 v[20:21], null, s2, v53, 0
	v_mad_u64_u32 v[26:27], null, s2, v55, 0
	;; [unrolled: 1-line block ×4, first 2 shown]
	v_lshlrev_b64 v[41:42], 4, v[44:45]
	v_mov_b32_e32 v13, v21
	v_mov_b32_e32 v21, v27
	v_add_f64 v[45:46], v[18:19], v[30:31]
	v_add_f64 v[16:17], v[18:19], v[0:1]
	v_add_f64 v[51:52], v[18:19], -v[0:1]
	v_add_f64 v[22:23], v[32:33], v[34:35]
	v_add_f64 v[47:48], v[2:3], v[4:5]
	;; [unrolled: 1-line block ×3, first 2 shown]
	v_add_f64 v[49:50], v[4:5], -v[6:7]
	v_add_f64 v[28:29], v[8:9], v[10:11]
	v_add_f64 v[43:44], v[8:9], -v[10:11]
	v_mad_u64_u32 v[53:54], null, s3, v53, v[13:14]
	v_add_f64 v[57:58], v[34:35], -v[0:1]
	v_add_f64 v[61:62], v[8:9], -v[4:5]
	;; [unrolled: 1-line block ×6, first 2 shown]
	v_mad_u64_u32 v[38:39], null, s2, v73, 0
	v_mov_b32_e32 v27, v37
	v_mov_b32_e32 v13, v40
	v_fma_f64 v[16:17], v[16:17], -0.5, v[30:31]
	v_fma_f64 v[22:23], v[22:23], -0.5, v[30:31]
	v_add_f64 v[30:31], v[32:33], -v[34:35]
	v_fma_f64 v[24:25], v[24:25], -0.5, v[2:3]
	v_add_f64 v[8:9], v[8:9], v[47:48]
	v_fma_f64 v[2:3], v[28:29], -0.5, v[2:3]
	v_mov_b32_e32 v28, v39
	v_mad_u64_u32 v[71:72], null, s3, v71, v[27:28]
	v_mad_u64_u32 v[28:29], null, s3, v73, v[28:29]
	v_add_co_u32 v27, vcc_lo, s10, v41
	v_add_co_ci_u32_e32 v37, vcc_lo, s11, v42, vcc_lo
	v_mov_b32_e32 v39, v28
	v_mad_u64_u32 v[54:55], null, s3, v55, v[21:22]
	v_add_f64 v[55:56], v[32:33], -v[18:19]
	v_add_f64 v[18:19], v[18:19], -v[32:33]
	v_add_f64 v[32:33], v[32:33], v[45:46]
	v_fma_f64 v[45:46], v[43:44], s[6:7], v[16:17]
	v_fma_f64 v[16:17], v[43:44], s[12:13], v[16:17]
	;; [unrolled: 1-line block ×8, first 2 shown]
	v_add_f64 v[8:9], v[8:9], v[10:11]
	v_lshlrev_b64 v[38:39], 4, v[38:39]
	v_add_f64 v[40:41], v[55:56], v[57:58]
	v_add_f64 v[57:58], v[4:5], v[65:66]
	;; [unrolled: 1-line block ×4, first 2 shown]
	v_fma_f64 v[10:11], v[49:50], s[4:5], v[45:46]
	v_fma_f64 v[16:17], v[49:50], s[8:9], v[16:17]
	v_fma_f64 v[32:33], v[43:44], s[4:5], v[47:48]
	v_fma_f64 v[34:35], v[43:44], s[8:9], v[21:22]
	v_fma_f64 v[22:23], v[51:52], s[4:5], v[23:24]
	v_fma_f64 v[24:25], v[30:31], s[8:9], v[69:70]
	v_fma_f64 v[29:30], v[30:31], s[4:5], v[2:3]
	v_add_f64 v[55:56], v[61:62], v[63:64]
	v_fma_f64 v[42:43], v[51:52], s[8:9], v[67:68]
	v_add_co_u32 v31, vcc_lo, v27, v14
	v_mov_b32_e32 v21, v53
	v_add_co_ci_u32_e32 v46, vcc_lo, v37, v15, vcc_lo
	v_lshlrev_b64 v[44:45], 4, v[12:13]
	v_mov_b32_e32 v27, v54
	v_lshlrev_b64 v[20:21], 4, v[20:21]
	v_mov_b32_e32 v37, v71
	v_add_f64 v[2:3], v[0:1], v[4:5]
	v_add_f64 v[0:1], v[8:9], v[6:7]
	v_fma_f64 v[6:7], v[40:41], s[0:1], v[10:11]
	v_fma_f64 v[10:11], v[40:41], s[0:1], v[16:17]
	;; [unrolled: 1-line block ×4, first 2 shown]
	v_lshlrev_b64 v[26:27], 4, v[26:27]
	v_fma_f64 v[12:13], v[57:58], s[0:1], v[24:25]
	v_fma_f64 v[16:17], v[57:58], s[0:1], v[29:30]
	;; [unrolled: 1-line block ×4, first 2 shown]
	v_add_co_u32 v22, vcc_lo, v31, v44
	v_add_co_ci_u32_e32 v23, vcc_lo, v46, v45, vcc_lo
	v_lshlrev_b64 v[36:37], 4, v[36:37]
	v_add_co_u32 v20, vcc_lo, v31, v20
	v_add_co_ci_u32_e32 v21, vcc_lo, v46, v21, vcc_lo
	v_add_co_u32 v24, vcc_lo, v31, v26
	v_add_co_ci_u32_e32 v25, vcc_lo, v46, v27, vcc_lo
	;; [unrolled: 2-line block ×4, first 2 shown]
	global_store_dwordx4 v[22:23], v[0:3], off
	global_store_dwordx4 v[20:21], v[16:19], off
	;; [unrolled: 1-line block ×5, first 2 shown]
.LBB0_27:
	s_endpgm
	.section	.rodata,"a",@progbits
	.p2align	6, 0x0
	.amdhsa_kernel fft_rtc_fwd_len1040_factors_13_16_5_wgs_208_tpt_208_halfLds_dp_op_CI_CI_sbrr_dirReg
		.amdhsa_group_segment_fixed_size 0
		.amdhsa_private_segment_fixed_size 0
		.amdhsa_kernarg_size 104
		.amdhsa_user_sgpr_count 6
		.amdhsa_user_sgpr_private_segment_buffer 1
		.amdhsa_user_sgpr_dispatch_ptr 0
		.amdhsa_user_sgpr_queue_ptr 0
		.amdhsa_user_sgpr_kernarg_segment_ptr 1
		.amdhsa_user_sgpr_dispatch_id 0
		.amdhsa_user_sgpr_flat_scratch_init 0
		.amdhsa_user_sgpr_private_segment_size 0
		.amdhsa_wavefront_size32 1
		.amdhsa_uses_dynamic_stack 0
		.amdhsa_system_sgpr_private_segment_wavefront_offset 0
		.amdhsa_system_sgpr_workgroup_id_x 1
		.amdhsa_system_sgpr_workgroup_id_y 0
		.amdhsa_system_sgpr_workgroup_id_z 0
		.amdhsa_system_sgpr_workgroup_info 0
		.amdhsa_system_vgpr_workitem_id 0
		.amdhsa_next_free_vgpr 174
		.amdhsa_next_free_sgpr 46
		.amdhsa_reserve_vcc 1
		.amdhsa_reserve_flat_scratch 0
		.amdhsa_float_round_mode_32 0
		.amdhsa_float_round_mode_16_64 0
		.amdhsa_float_denorm_mode_32 3
		.amdhsa_float_denorm_mode_16_64 3
		.amdhsa_dx10_clamp 1
		.amdhsa_ieee_mode 1
		.amdhsa_fp16_overflow 0
		.amdhsa_workgroup_processor_mode 1
		.amdhsa_memory_ordered 1
		.amdhsa_forward_progress 0
		.amdhsa_shared_vgpr_count 0
		.amdhsa_exception_fp_ieee_invalid_op 0
		.amdhsa_exception_fp_denorm_src 0
		.amdhsa_exception_fp_ieee_div_zero 0
		.amdhsa_exception_fp_ieee_overflow 0
		.amdhsa_exception_fp_ieee_underflow 0
		.amdhsa_exception_fp_ieee_inexact 0
		.amdhsa_exception_int_div_zero 0
	.end_amdhsa_kernel
	.text
.Lfunc_end0:
	.size	fft_rtc_fwd_len1040_factors_13_16_5_wgs_208_tpt_208_halfLds_dp_op_CI_CI_sbrr_dirReg, .Lfunc_end0-fft_rtc_fwd_len1040_factors_13_16_5_wgs_208_tpt_208_halfLds_dp_op_CI_CI_sbrr_dirReg
                                        ; -- End function
	.section	.AMDGPU.csdata,"",@progbits
; Kernel info:
; codeLenInByte = 9904
; NumSgprs: 48
; NumVgprs: 174
; ScratchSize: 0
; MemoryBound: 1
; FloatMode: 240
; IeeeMode: 1
; LDSByteSize: 0 bytes/workgroup (compile time only)
; SGPRBlocks: 5
; VGPRBlocks: 21
; NumSGPRsForWavesPerEU: 48
; NumVGPRsForWavesPerEU: 174
; Occupancy: 5
; WaveLimiterHint : 1
; COMPUTE_PGM_RSRC2:SCRATCH_EN: 0
; COMPUTE_PGM_RSRC2:USER_SGPR: 6
; COMPUTE_PGM_RSRC2:TRAP_HANDLER: 0
; COMPUTE_PGM_RSRC2:TGID_X_EN: 1
; COMPUTE_PGM_RSRC2:TGID_Y_EN: 0
; COMPUTE_PGM_RSRC2:TGID_Z_EN: 0
; COMPUTE_PGM_RSRC2:TIDIG_COMP_CNT: 0
	.text
	.p2alignl 6, 3214868480
	.fill 48, 4, 3214868480
	.type	__hip_cuid_7a5ecb2dc8a9bf16,@object ; @__hip_cuid_7a5ecb2dc8a9bf16
	.section	.bss,"aw",@nobits
	.globl	__hip_cuid_7a5ecb2dc8a9bf16
__hip_cuid_7a5ecb2dc8a9bf16:
	.byte	0                               ; 0x0
	.size	__hip_cuid_7a5ecb2dc8a9bf16, 1

	.ident	"AMD clang version 19.0.0git (https://github.com/RadeonOpenCompute/llvm-project roc-6.4.0 25133 c7fe45cf4b819c5991fe208aaa96edf142730f1d)"
	.section	".note.GNU-stack","",@progbits
	.addrsig
	.addrsig_sym __hip_cuid_7a5ecb2dc8a9bf16
	.amdgpu_metadata
---
amdhsa.kernels:
  - .args:
      - .actual_access:  read_only
        .address_space:  global
        .offset:         0
        .size:           8
        .value_kind:     global_buffer
      - .offset:         8
        .size:           8
        .value_kind:     by_value
      - .actual_access:  read_only
        .address_space:  global
        .offset:         16
        .size:           8
        .value_kind:     global_buffer
      - .actual_access:  read_only
        .address_space:  global
        .offset:         24
        .size:           8
        .value_kind:     global_buffer
      - .actual_access:  read_only
        .address_space:  global
        .offset:         32
        .size:           8
        .value_kind:     global_buffer
      - .offset:         40
        .size:           8
        .value_kind:     by_value
      - .actual_access:  read_only
        .address_space:  global
        .offset:         48
        .size:           8
        .value_kind:     global_buffer
      - .actual_access:  read_only
        .address_space:  global
        .offset:         56
        .size:           8
        .value_kind:     global_buffer
      - .offset:         64
        .size:           4
        .value_kind:     by_value
      - .actual_access:  read_only
        .address_space:  global
        .offset:         72
        .size:           8
        .value_kind:     global_buffer
      - .actual_access:  read_only
        .address_space:  global
        .offset:         80
        .size:           8
        .value_kind:     global_buffer
      - .actual_access:  read_only
        .address_space:  global
        .offset:         88
        .size:           8
        .value_kind:     global_buffer
      - .actual_access:  write_only
        .address_space:  global
        .offset:         96
        .size:           8
        .value_kind:     global_buffer
    .group_segment_fixed_size: 0
    .kernarg_segment_align: 8
    .kernarg_segment_size: 104
    .language:       OpenCL C
    .language_version:
      - 2
      - 0
    .max_flat_workgroup_size: 208
    .name:           fft_rtc_fwd_len1040_factors_13_16_5_wgs_208_tpt_208_halfLds_dp_op_CI_CI_sbrr_dirReg
    .private_segment_fixed_size: 0
    .sgpr_count:     48
    .sgpr_spill_count: 0
    .symbol:         fft_rtc_fwd_len1040_factors_13_16_5_wgs_208_tpt_208_halfLds_dp_op_CI_CI_sbrr_dirReg.kd
    .uniform_work_group_size: 1
    .uses_dynamic_stack: false
    .vgpr_count:     174
    .vgpr_spill_count: 0
    .wavefront_size: 32
    .workgroup_processor_mode: 1
amdhsa.target:   amdgcn-amd-amdhsa--gfx1030
amdhsa.version:
  - 1
  - 2
...

	.end_amdgpu_metadata
